;; amdgpu-corpus repo=ROCm/rocm-examples kind=compiled arch=gfx1250 opt=O3
	.amdgcn_target "amdgcn-amd-amdhsa--gfx1250"
	.amdhsa_code_object_version 6
	.text
	.protected	_Z21float_to_fp8_to_floatPf26__hip_fp8_interpretation_t18__hip_saturation_tS_m ; -- Begin function _Z21float_to_fp8_to_floatPf26__hip_fp8_interpretation_t18__hip_saturation_tS_m
	.globl	_Z21float_to_fp8_to_floatPf26__hip_fp8_interpretation_t18__hip_saturation_tS_m
	.p2align	8
	.type	_Z21float_to_fp8_to_floatPf26__hip_fp8_interpretation_t18__hip_saturation_tS_m,@function
_Z21float_to_fp8_to_floatPf26__hip_fp8_interpretation_t18__hip_saturation_tS_m: ; @_Z21float_to_fp8_to_floatPf26__hip_fp8_interpretation_t18__hip_saturation_tS_m
; %bb.0:
	s_load_b128 s[4:7], s[0:1], 0x10
	v_mov_b32_e32 v3, 0
	s_mov_b32 s2, exec_lo
	s_delay_alu instid0(VALU_DEP_1) | instskip(SKIP_1) | instid1(VALU_DEP_1)
	v_mov_b32_e32 v1, v3
	s_wait_kmcnt 0x0
	v_cmpx_gt_u64_e64 s[6:7], v[0:1]
	s_cbranch_execz .LBB0_74
; %bb.1:
	s_load_b128 s[0:3], s[0:1], 0x0
	s_wait_kmcnt 0x0
	global_load_b32 v9, v0, s[0:1] scale_offset
	s_wait_xcnt 0x0
	s_and_b32 s1, s2, -2
	s_cmp_eq_u32 s3, 1
	s_cselect_b32 s0, -1, 0
	s_cmp_lg_u32 s3, 1
	s_cselect_b32 s11, -1, 0
	s_cmp_lg_u32 s1, 2
	s_wait_loadcnt 0x0
	v_lshrrev_b32_e32 v10, 24, v9
	v_and_b32_e32 v2, 0x7fffff, v9
	v_bfe_u32 v8, v9, 23, 8
	v_and_b32_e32 v4, 0x7f800000, v9
	s_delay_alu instid0(VALU_DEP_4)
	v_and_b32_e32 v1, 0x80, v10
	s_cbranch_scc0 .LBB0_16
; %bb.2:
	s_cmp_eq_u32 s2, 0
	v_mov_b32_e32 v5, 0
	s_cselect_b32 s1, -1, 0
	s_cmp_lg_u32 s2, 0
	s_mov_b32 s7, 0
	s_cselect_b32 s3, -1, 0
                                        ; implicit-def: $vgpr11
	s_mov_b32 s6, exec_lo
	v_cmpx_ne_u64_e32 0x7f800000, v[4:5]
	s_xor_b32 s8, exec_lo, s6
	s_cbranch_execz .LBB0_33
; %bb.3:
	s_and_b32 s9, s0, exec_lo
	s_movk_i32 s6, 0x7b
	s_movk_i32 s9, 0x7e
	s_cselect_b32 s10, s6, 0x7c
	s_cselect_b32 s9, s9, 0x7f
	s_and_b32 s12, s1, exec_lo
	v_and_b32_e32 v6, 0x7fffffff, v9
	s_cselect_b32 s9, s9, s10
	s_delay_alu instid0(SALU_CYCLE_1) | instskip(SKIP_1) | instid1(SALU_CYCLE_1)
	v_dual_mov_b32 v7, v5 :: v_dual_bitop2_b32 v5, s9, v1 bitop3:0x54
	s_mov_b32 s6, 0x43e00000
                                        ; implicit-def: $vgpr11
	s_cselect_b32 s6, s6, 0x47600000
	s_delay_alu instid0(VALU_DEP_1) | instid1(SALU_CYCLE_1)
	v_cmp_ge_u64_e32 vcc_lo, s[6:7], v[6:7]
	s_and_saveexec_b32 s6, vcc_lo
	s_delay_alu instid0(SALU_CYCLE_1)
	s_xor_b32 s9, exec_lo, s6
	s_cbranch_execz .LBB0_30
; %bb.4:
	v_mov_b32_e32 v11, 0
	s_mov_b32 s10, exec_lo
	v_cmpx_ne_u32_e32 0, v9
	s_cbranch_execz .LBB0_29
; %bb.5:
	s_and_b32 s6, s1, exec_lo
	s_cselect_b32 s6, 4, 5
	s_mov_b32 s12, exec_lo
	s_add_co_i32 s7, s6, -1
                                        ; implicit-def: $vgpr6_vgpr7
                                        ; implicit-def: $vgpr12
                                        ; implicit-def: $vgpr11
	s_delay_alu instid0(SALU_CYCLE_1)
	s_lshl_b32 s7, -1, s7
	v_cmpx_ne_u32_e32 0, v8
	s_xor_b32 s12, exec_lo, s12
; %bb.6:
	v_add_nc_u32_e32 v11, 0xffffff81, v8
	s_add_co_i32 s13, s7, 2
	v_or_b32_e32 v6, 0x800000, v2
	s_delay_alu instid0(VALU_DEP_2) | instskip(SKIP_1) | instid1(VALU_DEP_2)
	v_sub_nc_u32_e32 v7, s13, v11
	v_cmp_ge_i32_e32 vcc_lo, s13, v11
	v_dual_cndmask_b32 v12, 0, v7 :: v_dual_mov_b32 v7, v3
; %bb.7:
	s_and_not1_saveexec_b32 s12, s12
; %bb.8:
	s_add_co_i32 s13, s7, 0x80
	v_mov_b64_e32 v[6:7], v[2:3]
	v_dual_mov_b32 v11, 0xffffff82 :: v_dual_mov_b32 v12, s13
; %bb.9:
	s_or_b32 exec_lo, exec_lo, s12
	s_delay_alu instid0(SALU_CYCLE_1) | instskip(SKIP_3) | instid1(SALU_CYCLE_1)
	s_and_b32 s1, s1, exec_lo
	s_cselect_b32 s12, 3, 2
	s_mov_b32 s16, 0
	s_xor_b32 s13, s12, 23
	v_dual_add_nc_u32 v18, s13, v12 :: v_dual_max_i32 v13, 0, v12
	s_lshl_b64 s[14:15], 1, s13
	v_xad_u32 v11, s7, -1, v11
	s_delay_alu instid0(VALU_DEP_2) | instskip(NEXT) | instid1(VALU_DEP_3)
	v_lshrrev_b64 v[14:15], v13, v[6:7]
	v_lshlrev_b64_e64 v[16:17], v18, -1
	s_delay_alu instid0(VALU_DEP_2) | instskip(NEXT) | instid1(VALU_DEP_1)
	v_dual_add_nc_u32 v13, -1, v18 :: v_dual_bitop2_b32 v19, s15, v15 bitop3:0x40
	v_lshlrev_b64_e64 v[20:21], v13, 1
	s_delay_alu instid0(VALU_DEP_4) | instskip(NEXT) | instid1(VALU_DEP_4)
	v_and_b32_e32 v18, s14, v14
	v_bfi_b32 v7, v17, 0, v7
	v_bfi_b32 v6, v16, 0, v6
	s_add_nc_u64 s[14:15], s[14:15], -1
	s_delay_alu instid0(VALU_DEP_1) | instskip(SKIP_3) | instid1(SALU_CYCLE_1)
	v_cmp_eq_u64_e64 s1, v[6:7], v[20:21]
	v_mov_b32_e32 v7, s16
	v_cmp_eq_u64_e32 vcc_lo, 0, v[18:19]
	s_and_b32 s1, s1, vcc_lo
	v_cndmask_b32_e64 v6, 0, 1, s1
	s_mov_b32 s1, exec_lo
	s_delay_alu instid0(VALU_DEP_1) | instskip(NEXT) | instid1(VALU_DEP_1)
	v_sub_nc_u64_e32 v[6:7], v[14:15], v[6:7]
	v_dual_lshrrev_b32 v13, 23, v14 :: v_dual_bitop2_b32 v7, s15, v7 bitop3:0x40
	s_delay_alu instid0(VALU_DEP_1) | instskip(NEXT) | instid1(VALU_DEP_3)
	v_add3_u32 v11, v11, v12, v13
	v_and_b32_e32 v6, s14, v6
                                        ; implicit-def: $vgpr12
	s_delay_alu instid0(VALU_DEP_2) | instskip(NEXT) | instid1(VALU_DEP_2)
	v_add_nc_u32_e32 v13, -1, v11
	v_add_nc_u64_e32 v[6:7], v[6:7], v[14:15]
	s_delay_alu instid0(VALU_DEP_2)
	v_cmpx_ne_u32_e32 0, v13
	s_xor_b32 s1, exec_lo, s1
	s_cbranch_execz .LBB0_11
; %bb.10:
	s_delay_alu instid0(VALU_DEP_2) | instskip(SKIP_2) | instid1(VALU_DEP_2)
	v_and_b32_e32 v14, 0x1000000, v6
	v_mov_b32_e32 v15, 0
	v_bfe_u32 v12, v6, 24, 1
	v_cmp_eq_u64_e32 vcc_lo, 0, v[14:15]
	s_delay_alu instid0(VALU_DEP_2)
	v_lshrrev_b64 v[6:7], v12, v[6:7]
	v_cndmask_b32_e32 v12, v11, v13, vcc_lo
.LBB0_11:
	s_and_not1_saveexec_b32 s1, s1
; %bb.12:
	s_delay_alu instid0(VALU_DEP_2)
	v_bfe_u32 v12, v6, 23, 1
; %bb.13:
	s_or_b32 exec_lo, exec_lo, s1
	s_delay_alu instid0(VALU_DEP_3)
	v_lshrrev_b64 v[6:7], s13, v[6:7]
	s_lshl_b32 s1, -1, s6
	s_mov_b32 s7, -1
	s_not_b32 s13, s1
	s_mov_b32 s1, exec_lo
                                        ; implicit-def: $vgpr11
	v_cmpx_lt_i32_e64 s13, v12
	s_cbranch_execz .LBB0_22
; %bb.14:
	s_and_b32 vcc_lo, exec_lo, s11
	s_cbranch_vccz .LBB0_17
; %bb.15:
	v_mov_b32_e32 v11, v5
	s_mov_b32 s6, 0
	s_branch .LBB0_18
.LBB0_16:
                                        ; implicit-def: $vgpr11
	s_branch .LBB0_43
.LBB0_17:
	s_mov_b32 s6, -1
                                        ; implicit-def: $vgpr11
.LBB0_18:
	s_delay_alu instid0(SALU_CYCLE_1)
	s_and_not1_b32 vcc_lo, exec_lo, s6
	s_cbranch_vccnz .LBB0_20
; %bb.19:
	s_lshl_b32 s6, -1, s12
	s_mov_b32 s11, -1
	s_not_b32 s6, s6
	s_mov_b32 s7, 0
	s_branch .LBB0_21
.LBB0_20:
	s_mov_b32 s11, 0
                                        ; implicit-def: $sgpr6_sgpr7
.LBB0_21:
	v_mov_b64_e32 v[6:7], s[6:7]
	v_mov_b32_e32 v12, s13
	s_or_not1_b32 s7, s11, exec_lo
.LBB0_22:
	s_or_b32 exec_lo, exec_lo, s1
	s_and_saveexec_b32 s6, s7
	s_cbranch_execz .LBB0_28
; %bb.23:
	s_delay_alu instid0(VALU_DEP_2) | instskip(SKIP_2) | instid1(SALU_CYCLE_1)
	v_cmp_ne_u64_e32 vcc_lo, 0, v[6:7]
	v_cmp_ne_u32_e64 s1, 0, v12
                                        ; implicit-def: $vgpr11
	s_or_b32 s1, s1, vcc_lo
	s_and_saveexec_b32 s7, s1
	s_delay_alu instid0(SALU_CYCLE_1)
	s_xor_b32 s1, exec_lo, s7
; %bb.24:
	v_lshl_or_b32 v5, v12, s12, v1
	s_lshl_b32 s7, -1, s12
	s_delay_alu instid0(VALU_DEP_1) | instid1(SALU_CYCLE_1)
	v_bitop3_b32 v11, v6, v5, s7 bitop3:0xdc
; %bb.25:
	s_and_not1_saveexec_b32 s1, s1
; %bb.26:
	v_mov_b32_e32 v11, v1
; %bb.27:
	s_or_b32 exec_lo, exec_lo, s1
.LBB0_28:
	s_delay_alu instid0(SALU_CYCLE_1)
	s_or_b32 exec_lo, exec_lo, s6
.LBB0_29:
	s_delay_alu instid0(SALU_CYCLE_1)
	s_or_b32 exec_lo, exec_lo, s10
                                        ; implicit-def: $vgpr5
.LBB0_30:
	s_and_not1_saveexec_b32 s1, s9
; %bb.31:
	v_mov_b32_e32 v11, v5
; %bb.32:
	s_or_b32 exec_lo, exec_lo, s1
.LBB0_33:
	s_and_not1_saveexec_b32 s1, s8
	s_cbranch_execz .LBB0_42
; %bb.34:
	v_or_b32_e32 v5, 0x7f, v10
	s_and_b32 vcc_lo, exec_lo, s3
	s_cbranch_vccz .LBB0_40
; %bb.35:
	s_mov_b32 s3, exec_lo
                                        ; implicit-def: $vgpr11
	v_cmpx_ne_u64_e32 0, v[2:3]
	s_xor_b32 s3, exec_lo, s3
; %bb.36:
	v_mov_b32_e32 v11, v5
; %bb.37:
	s_and_not1_saveexec_b32 s3, s3
; %bb.38:
	v_cmp_lt_i32_e32 vcc_lo, -1, v9
	v_cndmask_b32_e64 v11, -4, 0x7c, vcc_lo
; %bb.39:
	s_or_b32 exec_lo, exec_lo, s3
	s_cbranch_execz .LBB0_41
	s_branch .LBB0_42
.LBB0_40:
                                        ; implicit-def: $vgpr11
.LBB0_41:
	s_delay_alu instid0(VALU_DEP_1)
	v_mov_b32_e32 v11, v5
.LBB0_42:
	s_or_b32 exec_lo, exec_lo, s1
	s_cbranch_execnz .LBB0_73
.LBB0_43:
	v_mov_b32_e32 v5, 0
	v_mov_b32_e32 v11, 0x80
	s_mov_b32 s6, exec_lo
	s_delay_alu instid0(VALU_DEP_2)
	v_cmpx_ne_u64_e32 0x7f800000, v[4:5]
	s_cbranch_execz .LBB0_72
; %bb.44:
	s_cmp_eq_u32 s2, 2
	v_and_b32_e32 v4, 0x7fffffff, v9
	s_cselect_b32 s1, -1, 0
	s_mov_b32 s2, 0x43700000
	s_and_b32 s3, s1, exec_lo
	s_cselect_b32 s2, s2, 0x47600000
	s_mov_b32 s3, 0
                                        ; implicit-def: $vgpr11
	s_delay_alu instid0(SALU_CYCLE_1) | instskip(SKIP_1) | instid1(SALU_CYCLE_1)
	v_cmp_ge_u64_e32 vcc_lo, s[2:3], v[4:5]
	s_and_saveexec_b32 s2, vcc_lo
	s_xor_b32 s7, exec_lo, s2
	s_cbranch_execz .LBB0_69
; %bb.45:
	v_mov_b32_e32 v11, 0
	s_mov_b32 s8, exec_lo
	v_cmpx_ne_u32_e32 0, v9
	s_cbranch_execz .LBB0_68
; %bb.46:
	s_and_b32 s2, s1, exec_lo
	s_cselect_b32 s2, 4, 5
	s_mov_b32 s9, exec_lo
	s_add_co_i32 s3, s2, -1
                                        ; implicit-def: $vgpr7
                                        ; implicit-def: $vgpr6
	s_delay_alu instid0(SALU_CYCLE_1)
	s_lshl_b32 s3, 1, s3
	v_cmpx_ne_u32_e32 0, v8
	s_xor_b32 s9, exec_lo, s9
; %bb.47:
	v_add_nc_u32_e32 v6, 0xffffff81, v8
	s_sub_co_i32 s10, 1, s3
	v_or_b32_e32 v2, 0x800000, v2
	s_delay_alu instid0(VALU_DEP_2) | instskip(SKIP_1) | instid1(VALU_DEP_2)
	v_sub_nc_u32_e32 v4, s10, v6
	v_cmp_ge_i32_e32 vcc_lo, s10, v6
	v_cndmask_b32_e32 v7, 0, v4, vcc_lo
; %bb.48:
	s_and_not1_saveexec_b32 s9, s9
; %bb.49:
	s_sub_co_i32 s10, 0x7f, s3
	s_delay_alu instid0(SALU_CYCLE_1)
	v_dual_mov_b32 v6, 0xffffff82 :: v_dual_mov_b32 v7, s10
; %bb.50:
	s_or_b32 exec_lo, exec_lo, s9
	s_delay_alu instid0(SALU_CYCLE_1) | instskip(NEXT) | instid1(VALU_DEP_1)
	s_mov_b32 s9, exec_lo
                                        ; implicit-def: $vgpr4_vgpr5
	v_cmpx_gt_i32_e32 1, v7
	s_xor_b32 s9, exec_lo, s9
; %bb.51:
	v_cmp_eq_u32_e32 vcc_lo, -1, v7
	v_cndmask_b32_e64 v4, 0, 1, vcc_lo
	s_delay_alu instid0(VALU_DEP_1)
	v_lshlrev_b64_e32 v[4:5], v4, v[2:3]
; %bb.52:
	s_and_not1_saveexec_b32 s9, s9
; %bb.53:
	v_lshrrev_b64 v[4:5], v7, v[2:3]
; %bb.54:
	s_or_b32 exec_lo, exec_lo, s9
	s_delay_alu instid0(SALU_CYCLE_1)
	s_and_b32 s1, s1, exec_lo
	s_cselect_b32 s9, 3, 2
	s_mov_b32 s11, 0
	s_xor_b32 s10, s9, 23
	v_add_nc_u32_e32 v6, s3, v6
	s_lshl_b64 s[12:13], 1, s10
	s_delay_alu instid0(SALU_CYCLE_1) | instskip(NEXT) | instid1(VALU_DEP_1)
	v_dual_add_nc_u32 v10, s10, v7 :: v_dual_bitop2_b32 v11, s13, v5 bitop3:0x40
	v_lshlrev_b64_e64 v[8:9], v10, -1
	v_dual_add_nc_u32 v12, -1, v10 :: v_dual_bitop2_b32 v10, s12, v4 bitop3:0x40
	s_add_nc_u64 s[12:13], s[12:13], -1
	s_delay_alu instid0(VALU_DEP_1) | instskip(NEXT) | instid1(VALU_DEP_3)
	v_lshlrev_b64_e64 v[12:13], v12, 1
	v_bfi_b32 v3, v9, 0, v3
	s_delay_alu instid0(VALU_DEP_4) | instskip(SKIP_2) | instid1(VALU_DEP_3)
	v_bfi_b32 v2, v8, 0, v2
	v_cmp_eq_u64_e32 vcc_lo, 0, v[10:11]
	v_bfe_u32 v8, v4, 23, 1
	v_cmp_eq_u64_e64 s1, v[2:3], v[12:13]
	v_mov_b32_e32 v3, s11
	s_delay_alu instid0(VALU_DEP_3) | instskip(SKIP_1) | instid1(VALU_DEP_1)
	v_add3_u32 v6, v6, v7, v8
	s_and_b32 s1, s1, vcc_lo
	v_add_nc_u32_e32 v7, -1, v6
	v_cndmask_b32_e64 v2, 0, 1, s1
	s_mov_b32 s1, exec_lo
	s_delay_alu instid0(VALU_DEP_1) | instskip(NEXT) | instid1(VALU_DEP_1)
	v_sub_nc_u64_e32 v[2:3], v[4:5], v[2:3]
	v_and_b32_e32 v3, s13, v3
	s_delay_alu instid0(VALU_DEP_2) | instskip(NEXT) | instid1(VALU_DEP_1)
	v_and_b32_e32 v2, s12, v2
	v_add_nc_u64_e32 v[2:3], v[2:3], v[4:5]
                                        ; implicit-def: $vgpr4
	v_cmpx_ne_u32_e32 0, v7
	s_xor_b32 s1, exec_lo, s1
	s_cbranch_execz .LBB0_56
; %bb.55:
	s_delay_alu instid0(VALU_DEP_2) | instskip(SKIP_2) | instid1(VALU_DEP_2)
	v_and_b32_e32 v4, 0x1000000, v2
	v_mov_b32_e32 v5, 0
	v_bfe_u32 v8, v2, 24, 1
	v_cmp_eq_u64_e32 vcc_lo, 0, v[4:5]
	s_delay_alu instid0(VALU_DEP_2)
	v_lshrrev_b64 v[2:3], v8, v[2:3]
	v_cndmask_b32_e32 v4, v6, v7, vcc_lo
.LBB0_56:
	s_and_not1_saveexec_b32 s1, s1
; %bb.57:
	s_delay_alu instid0(VALU_DEP_2)
	v_bfe_u32 v4, v2, 23, 1
; %bb.58:
	s_or_b32 exec_lo, exec_lo, s1
	s_delay_alu instid0(VALU_DEP_3)
	v_lshrrev_b64 v[2:3], s10, v[2:3]
	s_lshl_b32 s1, -1, s2
	s_mov_b32 s3, -1
	s_not_b32 s10, s1
	s_mov_b32 s1, exec_lo
	v_cmpx_lt_i32_e64 s10, v4
	s_cbranch_execz .LBB0_63
; %bb.59:
	s_and_b32 vcc_lo, exec_lo, s0
	s_cbranch_vccz .LBB0_61
; %bb.60:
	s_lshl_b32 s2, -1, s9
	s_mov_b32 s11, -1
	s_not_b32 s2, s2
	s_mov_b32 s3, 0
	s_branch .LBB0_62
.LBB0_61:
                                        ; implicit-def: $sgpr2_sgpr3
.LBB0_62:
	v_mov_b64_e32 v[2:3], s[2:3]
	v_mov_b32_e32 v4, s10
	s_or_not1_b32 s3, s11, exec_lo
.LBB0_63:
	s_or_b32 exec_lo, exec_lo, s1
	v_mov_b32_e32 v11, 0x80
	s_and_saveexec_b32 s2, s3
	s_cbranch_execz .LBB0_67
; %bb.64:
	v_cmp_ne_u64_e32 vcc_lo, 0, v[2:3]
	v_cmp_ne_u32_e64 s1, 0, v4
	v_mov_b32_e32 v11, 0
	s_or_b32 s3, s1, vcc_lo
	s_delay_alu instid0(SALU_CYCLE_1)
	s_and_saveexec_b32 s1, s3
; %bb.65:
	v_lshl_or_b32 v1, v4, s9, v1
	s_lshl_b32 s3, -1, s9
	s_delay_alu instid0(VALU_DEP_1) | instid1(SALU_CYCLE_1)
	v_bitop3_b32 v11, v2, v1, s3 bitop3:0xdc
; %bb.66:
	s_or_b32 exec_lo, exec_lo, s1
.LBB0_67:
	s_delay_alu instid0(SALU_CYCLE_1)
	s_or_b32 exec_lo, exec_lo, s2
.LBB0_68:
	s_delay_alu instid0(SALU_CYCLE_1)
	s_or_b32 exec_lo, exec_lo, s8
                                        ; implicit-def: $vgpr10
.LBB0_69:
	s_and_not1_saveexec_b32 s1, s7
; %bb.70:
	v_or_b32_e32 v1, 0x7f, v10
	s_delay_alu instid0(VALU_DEP_1)
	v_cndmask_b32_e64 v11, 0xffffff80, v1, s0
; %bb.71:
	s_or_b32 exec_lo, exec_lo, s1
.LBB0_72:
	s_delay_alu instid0(SALU_CYCLE_1)
	s_or_b32 exec_lo, exec_lo, s6
.LBB0_73:
	s_delay_alu instid0(VALU_DEP_1)
	v_cvt_f32_ubyte0_e32 v1, v11
	global_store_b32 v0, v1, s[4:5] scale_offset
.LBB0_74:
	s_endpgm
	.section	.rodata,"a",@progbits
	.p2align	6, 0x0
	.amdhsa_kernel _Z21float_to_fp8_to_floatPf26__hip_fp8_interpretation_t18__hip_saturation_tS_m
		.amdhsa_group_segment_fixed_size 0
		.amdhsa_private_segment_fixed_size 0
		.amdhsa_kernarg_size 32
		.amdhsa_user_sgpr_count 2
		.amdhsa_user_sgpr_dispatch_ptr 0
		.amdhsa_user_sgpr_queue_ptr 0
		.amdhsa_user_sgpr_kernarg_segment_ptr 1
		.amdhsa_user_sgpr_dispatch_id 0
		.amdhsa_user_sgpr_kernarg_preload_length 0
		.amdhsa_user_sgpr_kernarg_preload_offset 0
		.amdhsa_user_sgpr_private_segment_size 0
		.amdhsa_wavefront_size32 1
		.amdhsa_uses_dynamic_stack 0
		.amdhsa_enable_private_segment 0
		.amdhsa_system_sgpr_workgroup_id_x 1
		.amdhsa_system_sgpr_workgroup_id_y 0
		.amdhsa_system_sgpr_workgroup_id_z 0
		.amdhsa_system_sgpr_workgroup_info 0
		.amdhsa_system_vgpr_workitem_id 0
		.amdhsa_next_free_vgpr 22
		.amdhsa_next_free_sgpr 17
		.amdhsa_named_barrier_count 0
		.amdhsa_reserve_vcc 1
		.amdhsa_float_round_mode_32 0
		.amdhsa_float_round_mode_16_64 0
		.amdhsa_float_denorm_mode_32 3
		.amdhsa_float_denorm_mode_16_64 3
		.amdhsa_fp16_overflow 0
		.amdhsa_memory_ordered 1
		.amdhsa_forward_progress 1
		.amdhsa_inst_pref_size 14
		.amdhsa_round_robin_scheduling 0
		.amdhsa_exception_fp_ieee_invalid_op 0
		.amdhsa_exception_fp_denorm_src 0
		.amdhsa_exception_fp_ieee_div_zero 0
		.amdhsa_exception_fp_ieee_overflow 0
		.amdhsa_exception_fp_ieee_underflow 0
		.amdhsa_exception_fp_ieee_inexact 0
		.amdhsa_exception_int_div_zero 0
	.end_amdhsa_kernel
	.text
.Lfunc_end0:
	.size	_Z21float_to_fp8_to_floatPf26__hip_fp8_interpretation_t18__hip_saturation_tS_m, .Lfunc_end0-_Z21float_to_fp8_to_floatPf26__hip_fp8_interpretation_t18__hip_saturation_tS_m
                                        ; -- End function
	.set _Z21float_to_fp8_to_floatPf26__hip_fp8_interpretation_t18__hip_saturation_tS_m.num_vgpr, 22
	.set _Z21float_to_fp8_to_floatPf26__hip_fp8_interpretation_t18__hip_saturation_tS_m.num_agpr, 0
	.set _Z21float_to_fp8_to_floatPf26__hip_fp8_interpretation_t18__hip_saturation_tS_m.numbered_sgpr, 17
	.set _Z21float_to_fp8_to_floatPf26__hip_fp8_interpretation_t18__hip_saturation_tS_m.num_named_barrier, 0
	.set _Z21float_to_fp8_to_floatPf26__hip_fp8_interpretation_t18__hip_saturation_tS_m.private_seg_size, 0
	.set _Z21float_to_fp8_to_floatPf26__hip_fp8_interpretation_t18__hip_saturation_tS_m.uses_vcc, 1
	.set _Z21float_to_fp8_to_floatPf26__hip_fp8_interpretation_t18__hip_saturation_tS_m.uses_flat_scratch, 0
	.set _Z21float_to_fp8_to_floatPf26__hip_fp8_interpretation_t18__hip_saturation_tS_m.has_dyn_sized_stack, 0
	.set _Z21float_to_fp8_to_floatPf26__hip_fp8_interpretation_t18__hip_saturation_tS_m.has_recursion, 0
	.set _Z21float_to_fp8_to_floatPf26__hip_fp8_interpretation_t18__hip_saturation_tS_m.has_indirect_call, 0
	.section	.AMDGPU.csdata,"",@progbits
; Kernel info:
; codeLenInByte = 1748
; TotalNumSgprs: 19
; NumVgprs: 22
; ScratchSize: 0
; MemoryBound: 0
; FloatMode: 240
; IeeeMode: 1
; LDSByteSize: 0 bytes/workgroup (compile time only)
; SGPRBlocks: 0
; VGPRBlocks: 1
; NumSGPRsForWavesPerEU: 19
; NumVGPRsForWavesPerEU: 22
; NamedBarCnt: 0
; Occupancy: 16
; WaveLimiterHint : 0
; COMPUTE_PGM_RSRC2:SCRATCH_EN: 0
; COMPUTE_PGM_RSRC2:USER_SGPR: 2
; COMPUTE_PGM_RSRC2:TRAP_HANDLER: 0
; COMPUTE_PGM_RSRC2:TGID_X_EN: 1
; COMPUTE_PGM_RSRC2:TGID_Y_EN: 0
; COMPUTE_PGM_RSRC2:TGID_Z_EN: 0
; COMPUTE_PGM_RSRC2:TIDIG_COMP_CNT: 0
	.text
	.p2alignl 7, 3214868480
	.fill 96, 4, 3214868480
	.section	.AMDGPU.gpr_maximums,"",@progbits
	.set amdgpu.max_num_vgpr, 0
	.set amdgpu.max_num_agpr, 0
	.set amdgpu.max_num_sgpr, 0
	.text
	.type	__hip_cuid_176e0811a691bbd3,@object ; @__hip_cuid_176e0811a691bbd3
	.section	.bss,"aw",@nobits
	.globl	__hip_cuid_176e0811a691bbd3
__hip_cuid_176e0811a691bbd3:
	.byte	0                               ; 0x0
	.size	__hip_cuid_176e0811a691bbd3, 1

	.ident	"AMD clang version 22.0.0git (https://github.com/RadeonOpenCompute/llvm-project roc-7.2.4 26084 f58b06dce1f9c15707c5f808fd002e18c2accf7e)"
	.section	".note.GNU-stack","",@progbits
	.addrsig
	.addrsig_sym __hip_cuid_176e0811a691bbd3
	.amdgpu_metadata
---
amdhsa.kernels:
  - .args:
      - .address_space:  global
        .offset:         0
        .size:           8
        .value_kind:     global_buffer
      - .offset:         8
        .size:           4
        .value_kind:     by_value
      - .offset:         12
        .size:           4
        .value_kind:     by_value
      - .address_space:  global
        .offset:         16
        .size:           8
        .value_kind:     global_buffer
      - .offset:         24
        .size:           8
        .value_kind:     by_value
    .group_segment_fixed_size: 0
    .kernarg_segment_align: 8
    .kernarg_segment_size: 32
    .language:       OpenCL C
    .language_version:
      - 2
      - 0
    .max_flat_workgroup_size: 1024
    .name:           _Z21float_to_fp8_to_floatPf26__hip_fp8_interpretation_t18__hip_saturation_tS_m
    .private_segment_fixed_size: 0
    .sgpr_count:     19
    .sgpr_spill_count: 0
    .symbol:         _Z21float_to_fp8_to_floatPf26__hip_fp8_interpretation_t18__hip_saturation_tS_m.kd
    .uniform_work_group_size: 1
    .uses_dynamic_stack: false
    .vgpr_count:     22
    .vgpr_spill_count: 0
    .wavefront_size: 32
amdhsa.target:   amdgcn-amd-amdhsa--gfx1250
amdhsa.version:
  - 1
  - 2
...

	.end_amdgpu_metadata
